;; amdgpu-corpus repo=ROCm/rocFFT kind=compiled arch=gfx950 opt=O3
	.text
	.amdgcn_target "amdgcn-amd-amdhsa--gfx950"
	.amdhsa_code_object_version 6
	.protected	fft_rtc_fwd_len96_factors_8_3_4_wgs_256_tpt_32_sp_op_CI_CI_sbcc_twdbase6_3step ; -- Begin function fft_rtc_fwd_len96_factors_8_3_4_wgs_256_tpt_32_sp_op_CI_CI_sbcc_twdbase6_3step
	.globl	fft_rtc_fwd_len96_factors_8_3_4_wgs_256_tpt_32_sp_op_CI_CI_sbcc_twdbase6_3step
	.p2align	8
	.type	fft_rtc_fwd_len96_factors_8_3_4_wgs_256_tpt_32_sp_op_CI_CI_sbcc_twdbase6_3step,@function
fft_rtc_fwd_len96_factors_8_3_4_wgs_256_tpt_32_sp_op_CI_CI_sbcc_twdbase6_3step: ; @fft_rtc_fwd_len96_factors_8_3_4_wgs_256_tpt_32_sp_op_CI_CI_sbcc_twdbase6_3step
; %bb.0:
	s_load_dwordx8 s[4:11], s[0:1], 0x8
	s_load_dwordx2 s[28:29], s[0:1], 0x28
	s_movk_i32 s3, 0xc0
	v_cmp_gt_u32_e32 vcc, s3, v0
	s_and_saveexec_b64 s[12:13], vcc
	s_cbranch_execz .LBB0_2
; %bb.1:
	v_lshlrev_b32_e32 v1, 3, v0
	s_waitcnt lgkmcnt(0)
	global_load_dwordx2 v[2:3], v1, s[4:5]
	v_add_u32_e32 v1, 0, v1
	s_waitcnt vmcnt(0)
	ds_write_b64 v1, v[2:3] offset:6144
.LBB0_2:
	s_or_b64 exec, exec, s[12:13]
	s_waitcnt lgkmcnt(0)
	s_load_dwordx2 s[30:31], s[8:9], 0x8
	s_mov_b32 s3, 0
	s_waitcnt lgkmcnt(0)
	s_add_u32 s4, s30, -1
	s_addc_u32 s5, s31, -1
	s_lshr_b64 s[4:5], s[4:5], 3
	s_add_u32 s34, s4, 1
	s_addc_u32 s35, s5, 0
	v_mov_b64_e32 v[2:3], s[34:35]
	v_cmp_lt_u64_e32 vcc, s[2:3], v[2:3]
	s_mov_b64 s[4:5], 0
	s_cbranch_vccnz .LBB0_4
; %bb.3:
	v_cvt_f32_u32_e32 v1, s34
	s_sub_i32 s4, 0, s34
	v_rcp_iflag_f32_e32 v1, v1
	s_nop 0
	v_mul_f32_e32 v1, 0x4f7ffffe, v1
	v_cvt_u32_f32_e32 v1, v1
	s_nop 0
	v_readfirstlane_b32 s5, v1
	s_mul_i32 s4, s4, s5
	s_mul_hi_u32 s4, s5, s4
	s_add_i32 s5, s5, s4
	s_mul_hi_u32 s4, s2, s5
	s_mul_i32 s12, s4, s34
	s_sub_i32 s12, s2, s12
	s_add_i32 s5, s4, 1
	s_sub_i32 s13, s12, s34
	s_cmp_ge_u32 s12, s34
	s_cselect_b32 s4, s5, s4
	s_cselect_b32 s12, s13, s12
	s_add_i32 s5, s4, 1
	s_cmp_ge_u32 s12, s34
	s_cselect_b32 s4, s5, s4
	s_mov_b32 s5, s3
.LBB0_4:
	s_load_dwordx4 s[16:19], s[0:1], 0x60
	s_load_dwordx2 s[24:25], s[0:1], 0x0
	s_load_dwordx4 s[20:23], s[10:11], 0x0
	s_load_dwordx4 s[12:15], s[28:29], 0x0
	s_mul_i32 s0, s4, s35
	s_mul_hi_u32 s1, s4, s34
	s_add_i32 s1, s1, s0
	s_mul_i32 s0, s4, s34
	s_sub_u32 s0, s2, s0
	s_subb_u32 s1, 0, s1
	v_mov_b32_e32 v1, s0
	s_lshl_b64 s[26:27], s[0:1], 3
	v_alignbit_b32 v1, s1, v1, 29
	s_waitcnt lgkmcnt(0)
	v_mul_lo_u32 v2, s22, v1
	s_mul_hi_u32 s0, s22, s26
	v_add_u32_e32 v2, s0, v2
	s_mul_i32 s0, s23, s26
	v_add_u32_e32 v3, s0, v2
	s_mul_i32 s0, s22, s26
	v_mov_b32_e32 v2, s0
	v_mul_lo_u32 v1, s14, v1
	s_mul_hi_u32 s0, s14, s26
	v_add_u32_e32 v1, s0, v1
	s_mul_i32 s0, s15, s26
	v_add_u32_e32 v9, s0, v1
	s_mul_i32 s0, s14, s26
	v_mov_b32_e32 v8, s0
	v_cmp_lt_u64_e64 s[0:1], s[6:7], 3
	s_and_b64 vcc, exec, s[0:1]
	s_cbranch_vccnz .LBB0_13
; %bb.5:
	s_add_u32 s36, s28, 16
	s_addc_u32 s37, s29, 0
	s_add_u32 s38, s10, 16
	s_addc_u32 s39, s11, 0
	;; [unrolled: 2-line block ×3, first 2 shown]
	s_mov_b64 s[40:41], 2
	s_mov_b32 s42, 0
	v_mov_b64_e32 v[4:5], s[6:7]
	s_branch .LBB0_7
.LBB0_6:                                ;   in Loop: Header=BB0_7 Depth=1
	s_mul_i32 s33, s44, s35
	s_mul_hi_u32 s35, s44, s34
	s_add_i32 s33, s35, s33
	s_mul_i32 s35, s45, s34
	s_add_i32 s35, s33, s35
	s_mul_i32 s33, s0, s45
	s_mul_hi_u32 s43, s0, s44
	s_load_dwordx2 s[46:47], s[38:39], 0x0
	s_add_i32 s33, s43, s33
	s_mul_i32 s43, s1, s44
	s_add_i32 s33, s33, s43
	s_mul_i32 s43, s0, s44
	s_sub_u32 s43, s4, s43
	s_subb_u32 s33, s5, s33
	s_waitcnt lgkmcnt(0)
	s_mul_i32 s4, s46, s33
	s_mul_hi_u32 s5, s46, s43
	s_mul_i32 s34, s44, s34
	s_add_i32 s44, s5, s4
	s_load_dwordx2 s[4:5], s[36:37], 0x0
	s_mul_i32 s45, s47, s43
	s_add_i32 s45, s44, s45
	s_mul_i32 s44, s46, s43
	v_lshl_add_u64 v[2:3], s[44:45], 0, v[2:3]
	s_waitcnt lgkmcnt(0)
	s_mul_i32 s33, s4, s33
	s_mul_hi_u32 s44, s4, s43
	s_add_i32 s33, s44, s33
	s_mul_i32 s5, s5, s43
	s_add_i32 s5, s33, s5
	s_add_u32 s40, s40, 1
	s_addc_u32 s41, s41, 0
	s_add_u32 s36, s36, 8
	s_addc_u32 s37, s37, 0
	;; [unrolled: 2-line block ×3, first 2 shown]
	s_mul_i32 s4, s4, s43
	s_add_u32 s8, s8, 8
	v_cmp_ge_u64_e32 vcc, s[40:41], v[4:5]
	v_lshl_add_u64 v[8:9], s[4:5], 0, v[8:9]
	s_addc_u32 s9, s9, 0
	s_mov_b64 s[4:5], s[0:1]
	s_cbranch_vccnz .LBB0_11
.LBB0_7:                                ; =>This Inner Loop Header: Depth=1
	s_load_dwordx2 s[44:45], s[8:9], 0x0
	s_waitcnt lgkmcnt(0)
	s_or_b64 s[0:1], s[4:5], s[44:45]
	s_mov_b32 s43, s1
	s_cmp_lg_u64 s[42:43], 0
	s_cbranch_scc0 .LBB0_9
; %bb.8:                                ;   in Loop: Header=BB0_7 Depth=1
	v_cvt_f32_u32_e32 v1, s44
	v_cvt_f32_u32_e32 v6, s45
	s_sub_u32 s0, 0, s44
	s_subb_u32 s1, 0, s45
	v_fmac_f32_e32 v1, 0x4f800000, v6
	v_rcp_f32_e32 v1, v1
	s_nop 0
	v_mul_f32_e32 v1, 0x5f7ffffc, v1
	v_mul_f32_e32 v6, 0x2f800000, v1
	v_trunc_f32_e32 v6, v6
	v_fmac_f32_e32 v1, 0xcf800000, v6
	v_cvt_u32_f32_e32 v6, v6
	v_cvt_u32_f32_e32 v1, v1
	v_readfirstlane_b32 s33, v6
	v_readfirstlane_b32 s43, v1
	s_mul_i32 s46, s0, s33
	s_mul_hi_u32 s48, s0, s43
	s_mul_i32 s47, s1, s43
	s_add_i32 s46, s48, s46
	s_mul_i32 s49, s0, s43
	s_add_i32 s46, s46, s47
	s_mul_hi_u32 s47, s43, s46
	s_mul_i32 s48, s43, s46
	s_mul_hi_u32 s43, s43, s49
	s_add_u32 s43, s43, s48
	s_addc_u32 s47, 0, s47
	s_mul_hi_u32 s50, s33, s49
	s_mul_i32 s49, s33, s49
	s_add_u32 s43, s43, s49
	s_mul_hi_u32 s48, s33, s46
	s_addc_u32 s43, s47, s50
	s_addc_u32 s47, s48, 0
	s_mul_i32 s46, s33, s46
	s_add_u32 s43, s43, s46
	s_addc_u32 s46, 0, s47
	v_add_co_u32_e32 v1, vcc, s43, v1
	s_cmp_lg_u64 vcc, 0
	s_addc_u32 s33, s33, s46
	v_readfirstlane_b32 s46, v1
	s_mul_i32 s43, s0, s33
	s_mul_hi_u32 s47, s0, s46
	s_add_i32 s43, s47, s43
	s_mul_i32 s1, s1, s46
	s_add_i32 s43, s43, s1
	s_mul_i32 s0, s0, s46
	s_mul_hi_u32 s47, s33, s0
	s_mul_i32 s48, s33, s0
	s_mul_i32 s50, s46, s43
	s_mul_hi_u32 s0, s46, s0
	s_mul_hi_u32 s49, s46, s43
	s_add_u32 s0, s0, s50
	s_addc_u32 s46, 0, s49
	s_add_u32 s0, s0, s48
	s_mul_hi_u32 s1, s33, s43
	s_addc_u32 s0, s46, s47
	s_addc_u32 s1, s1, 0
	s_mul_i32 s43, s33, s43
	s_add_u32 s0, s0, s43
	s_addc_u32 s1, 0, s1
	v_add_co_u32_e32 v1, vcc, s0, v1
	s_cmp_lg_u64 vcc, 0
	s_addc_u32 s0, s33, s1
	v_readfirstlane_b32 s43, v1
	s_mul_i32 s33, s4, s0
	s_mul_hi_u32 s46, s4, s43
	s_mul_hi_u32 s1, s4, s0
	s_add_u32 s33, s46, s33
	s_addc_u32 s1, 0, s1
	s_mul_hi_u32 s47, s5, s43
	s_mul_i32 s43, s5, s43
	s_add_u32 s33, s33, s43
	s_mul_hi_u32 s46, s5, s0
	s_addc_u32 s1, s1, s47
	s_addc_u32 s33, s46, 0
	s_mul_i32 s0, s5, s0
	s_add_u32 s43, s1, s0
	s_addc_u32 s33, 0, s33
	s_mul_i32 s0, s44, s33
	s_mul_hi_u32 s1, s44, s43
	s_add_i32 s0, s1, s0
	s_mul_i32 s1, s45, s43
	s_add_i32 s46, s0, s1
	s_mul_i32 s1, s44, s43
	v_mov_b32_e32 v1, s1
	s_sub_i32 s0, s5, s46
	v_sub_co_u32_e32 v1, vcc, s4, v1
	s_cmp_lg_u64 vcc, 0
	s_subb_u32 s47, s0, s45
	v_subrev_co_u32_e64 v6, s[0:1], s44, v1
	s_cmp_lg_u64 s[0:1], 0
	s_subb_u32 s0, s47, 0
	s_cmp_ge_u32 s0, s45
	v_readfirstlane_b32 s47, v6
	s_cselect_b32 s1, -1, 0
	s_cmp_ge_u32 s47, s44
	s_cselect_b32 s47, -1, 0
	s_cmp_eq_u32 s0, s45
	s_cselect_b32 s0, s47, s1
	s_add_u32 s1, s43, 1
	s_addc_u32 s47, s33, 0
	s_add_u32 s48, s43, 2
	s_addc_u32 s49, s33, 0
	s_cmp_lg_u32 s0, 0
	s_cselect_b32 s0, s48, s1
	s_cselect_b32 s1, s49, s47
	s_cmp_lg_u64 vcc, 0
	s_subb_u32 s46, s5, s46
	s_cmp_ge_u32 s46, s45
	v_readfirstlane_b32 s48, v1
	s_cselect_b32 s47, -1, 0
	s_cmp_ge_u32 s48, s44
	s_cselect_b32 s48, -1, 0
	s_cmp_eq_u32 s46, s45
	s_cselect_b32 s46, s48, s47
	s_cmp_lg_u32 s46, 0
	s_cselect_b32 s1, s1, s33
	s_cselect_b32 s0, s0, s43
	s_cbranch_execnz .LBB0_6
	s_branch .LBB0_10
.LBB0_9:                                ;   in Loop: Header=BB0_7 Depth=1
                                        ; implicit-def: $sgpr0_sgpr1
.LBB0_10:                               ;   in Loop: Header=BB0_7 Depth=1
	v_cvt_f32_u32_e32 v1, s44
	s_sub_i32 s0, 0, s44
	v_rcp_iflag_f32_e32 v1, v1
	s_nop 0
	v_mul_f32_e32 v1, 0x4f7ffffe, v1
	v_cvt_u32_f32_e32 v1, v1
	s_nop 0
	v_readfirstlane_b32 s1, v1
	s_mul_i32 s0, s0, s1
	s_mul_hi_u32 s0, s1, s0
	s_add_i32 s1, s1, s0
	s_mul_hi_u32 s0, s4, s1
	s_mul_i32 s33, s0, s44
	s_sub_i32 s33, s4, s33
	s_add_i32 s1, s0, 1
	s_sub_i32 s43, s33, s44
	s_cmp_ge_u32 s33, s44
	s_cselect_b32 s0, s1, s0
	s_cselect_b32 s33, s43, s33
	s_add_i32 s1, s0, 1
	s_cmp_ge_u32 s33, s44
	s_cselect_b32 s0, s1, s0
	s_mov_b32 s1, s42
	s_branch .LBB0_6
.LBB0_11:
	v_mov_b64_e32 v[4:5], s[34:35]
	v_cmp_lt_u64_e32 vcc, s[2:3], v[4:5]
	s_mov_b64 s[4:5], 0
	s_cbranch_vccnz .LBB0_13
; %bb.12:
	v_cvt_f32_u32_e32 v1, s34
	s_sub_i32 s0, 0, s34
	v_rcp_iflag_f32_e32 v1, v1
	s_nop 0
	v_mul_f32_e32 v1, 0x4f7ffffe, v1
	v_cvt_u32_f32_e32 v1, v1
	s_nop 0
	v_readfirstlane_b32 s1, v1
	s_mul_i32 s0, s0, s1
	s_mul_hi_u32 s0, s1, s0
	s_add_i32 s1, s1, s0
	s_mul_hi_u32 s0, s2, s1
	s_mul_i32 s3, s0, s34
	s_sub_i32 s2, s2, s3
	s_add_i32 s1, s0, 1
	s_sub_i32 s3, s2, s34
	s_cmp_ge_u32 s2, s34
	s_cselect_b32 s0, s1, s0
	s_cselect_b32 s2, s3, s2
	s_add_i32 s1, s0, 1
	s_cmp_ge_u32 s2, s34
	s_cselect_b32 s4, s1, s0
.LBB0_13:
	s_lshl_b64 s[8:9], s[6:7], 3
	s_add_u32 s6, s28, s8
	s_addc_u32 s7, s29, s9
	s_add_u32 s0, s26, 8
	s_addc_u32 s1, s27, 0
	v_mov_b64_e32 v[4:5], s[30:31]
	v_and_b32_e32 v36, 7, v0
	v_cmp_le_u64_e32 vcc, s[0:1], v[4:5]
	v_or_b32_e32 v4, s26, v36
	v_mov_b32_e32 v5, s27
	v_lshrrev_b32_e32 v37, 3, v0
	v_cmp_gt_u64_e64 s[0:1], s[30:31], v[4:5]
	s_or_b64 s[2:3], vcc, s[0:1]
	v_lshlrev_b32_e32 v38, 3, v37
	v_add_u32_e32 v35, 32, v37
	v_add_u32_e32 v34, 64, v37
	s_and_saveexec_b64 s[0:1], s[2:3]
	s_cbranch_execz .LBB0_15
; %bb.14:
	s_add_u32 s8, s10, s8
	s_addc_u32 s9, s11, s9
	s_load_dwordx2 s[8:9], s[8:9], 0x0
	v_mad_u64_u32 v[4:5], s[10:11], s22, v36, 0
	v_mov_b32_e32 v6, v5
	v_mad_u64_u32 v[6:7], s[10:11], s23, v36, v[6:7]
	s_waitcnt lgkmcnt(0)
	s_mul_i32 s5, s9, s4
	s_mul_hi_u32 s9, s8, s4
	s_mul_i32 s8, s8, s4
	s_add_i32 s9, s9, s5
	s_lshl_b64 s[8:9], s[8:9], 3
	v_mov_b32_e32 v5, v6
	v_mad_u64_u32 v[6:7], s[10:11], s20, v37, 0
	s_add_u32 s8, s16, s8
	v_mov_b32_e32 v10, v7
	s_addc_u32 s9, s17, s9
	v_lshlrev_b64 v[2:3], 3, v[2:3]
	v_mad_u64_u32 v[10:11], s[10:11], s21, v37, v[10:11]
	v_lshl_add_u64 v[2:3], s[8:9], 0, v[2:3]
	v_mov_b32_e32 v7, v10
	v_lshl_add_u64 v[2:3], v[4:5], 3, v[2:3]
	v_lshl_add_u64 v[4:5], v[6:7], 3, v[2:3]
	v_mad_u64_u32 v[6:7], s[8:9], s20, v35, 0
	v_mov_b32_e32 v10, v7
	v_mad_u64_u32 v[10:11], s[8:9], s21, v35, v[10:11]
	v_mov_b32_e32 v7, v10
	;; [unrolled: 2-line block ×4, first 2 shown]
	v_lshl_add_u64 v[6:7], v[6:7], 3, v[2:3]
	v_lshl_add_u64 v[2:3], v[10:11], 3, v[2:3]
	global_load_dwordx2 v[10:11], v[4:5], off
	global_load_dwordx2 v[12:13], v[6:7], off
	;; [unrolled: 1-line block ×3, first 2 shown]
	v_mul_u32_u24_e32 v1, 0x300, v36
	v_add3_u32 v1, 0, v1, v38
	s_waitcnt vmcnt(1)
	ds_write2_b64 v1, v[10:11], v[12:13] offset1:32
	s_waitcnt vmcnt(0)
	ds_write_b64 v1, v[14:15] offset:512
.LBB0_15:
	s_or_b64 exec, exec, s[0:1]
	v_lshrrev_b32_e32 v26, 5, v0
	v_and_b32_e32 v27, 31, v0
	v_mul_u32_u24_e32 v1, 0x60, v26
	v_lshlrev_b32_e32 v0, 3, v27
	v_lshlrev_b32_e32 v28, 3, v1
	v_add_u32_e32 v29, 0, v0
	v_add_u32_e32 v39, v29, v28
	s_waitcnt lgkmcnt(0)
	s_barrier
	v_add3_u32 v40, 0, v28, v0
	ds_read2_b64 v[0:3], v39 offset0:12 offset1:24
	ds_read2_b64 v[4:7], v39 offset0:36 offset1:48
	ds_read_b64 v[20:21], v40
	ds_read2_b64 v[14:17], v39 offset0:60 offset1:72
	ds_read_b64 v[10:11], v39 offset:672
	s_mov_b32 s8, 0x3f3504f3
	v_cmp_gt_u32_e32 vcc, 12, v27
	s_waitcnt lgkmcnt(2)
	v_pk_add_f32 v[12:13], v[20:21], v[6:7] neg_lo:[0,1] neg_hi:[0,1]
	s_waitcnt lgkmcnt(1)
	v_pk_add_f32 v[24:25], v[2:3], v[16:17] neg_lo:[0,1] neg_hi:[0,1]
	v_pk_add_f32 v[16:17], v[0:1], v[14:15] neg_lo:[0,1] neg_hi:[0,1]
	s_waitcnt lgkmcnt(0)
	v_pk_add_f32 v[22:23], v[4:5], v[10:11] neg_lo:[0,1] neg_hi:[0,1]
	v_pk_add_f32 v[14:15], v[12:13], v[24:25] op_sel:[0,1] op_sel_hi:[1,0] neg_lo:[0,1] neg_hi:[0,1]
	v_pk_add_f32 v[6:7], v[12:13], v[24:25] op_sel:[0,1] op_sel_hi:[1,0]
	v_pk_add_f32 v[18:19], v[16:17], v[22:23] op_sel:[0,1] op_sel_hi:[1,0] neg_lo:[0,1] neg_hi:[0,1]
	v_mov_b32_e32 v15, v7
	v_pk_add_f32 v[6:7], v[16:17], v[22:23] op_sel:[0,1] op_sel_hi:[1,0]
	s_nop 0
	v_mov_b32_e32 v19, v7
	v_pk_mul_f32 v[6:7], v[18:19], s[8:9] op_sel_hi:[1,0]
	v_pk_fma_f32 v[30:31], v[18:19], s[8:9], v[14:15] op_sel_hi:[1,0,1]
	s_barrier
	v_pk_add_f32 v[10:11], v[30:31], v[6:7] op_sel:[0,1] op_sel_hi:[1,0] neg_lo:[0,1] neg_hi:[0,1]
	v_pk_add_f32 v[6:7], v[30:31], v[6:7] op_sel:[0,1] op_sel_hi:[1,0]
	s_nop 0
	v_mov_b32_e32 v11, v7
	v_pk_fma_f32 v[6:7], v[14:15], 2.0, v[10:11] op_sel_hi:[1,0,1] neg_lo:[0,0,1] neg_hi:[0,0,1]
	s_and_saveexec_b64 s[0:1], vcc
	s_cbranch_execz .LBB0_17
; %bb.16:
	v_pk_fma_f32 v[20:21], v[20:21], 2.0, v[12:13] op_sel_hi:[1,0,1] neg_lo:[0,0,1] neg_hi:[0,0,1]
	v_pk_fma_f32 v[2:3], v[2:3], 2.0, v[24:25] op_sel_hi:[1,0,1] neg_lo:[0,0,1] neg_hi:[0,0,1]
	;; [unrolled: 1-line block ×6, first 2 shown]
	v_pk_add_f32 v[2:3], v[20:21], v[2:3] neg_lo:[0,1] neg_hi:[0,1]
	v_pk_add_f32 v[4:5], v[0:1], v[4:5] neg_lo:[0,1] neg_hi:[0,1]
	v_pk_mul_f32 v[18:19], v[16:17], s[8:9] op_sel_hi:[1,0]
	v_pk_fma_f32 v[14:15], v[16:17], s[8:9], v[12:13] op_sel_hi:[1,0,1] neg_lo:[1,0,0] neg_hi:[1,0,0]
	v_pk_fma_f32 v[20:21], v[20:21], 2.0, v[2:3] op_sel_hi:[1,0,1] neg_lo:[0,0,1] neg_hi:[0,0,1]
	v_pk_fma_f32 v[0:1], v[0:1], 2.0, v[4:5] op_sel_hi:[1,0,1] neg_lo:[0,0,1] neg_hi:[0,0,1]
	v_pk_add_f32 v[16:17], v[14:15], v[18:19] op_sel:[0,1] op_sel_hi:[1,0] neg_lo:[0,1] neg_hi:[0,1]
	v_pk_add_f32 v[14:15], v[14:15], v[18:19] op_sel:[0,1] op_sel_hi:[1,0]
	v_mul_u32_u24_e32 v30, 56, v27
	v_pk_add_f32 v[0:1], v[20:21], v[0:1] neg_lo:[0,1] neg_hi:[0,1]
	v_mov_b32_e32 v17, v15
	v_add3_u32 v29, v29, v30, v28
	v_pk_fma_f32 v[20:21], v[20:21], 2.0, v[0:1] op_sel_hi:[1,0,1] neg_lo:[0,0,1] neg_hi:[0,0,1]
	v_pk_fma_f32 v[12:13], v[12:13], 2.0, v[16:17] op_sel_hi:[1,0,1] neg_lo:[0,0,1] neg_hi:[0,0,1]
	ds_write2_b64 v29, v[20:21], v[12:13] offset1:1
	v_pk_add_f32 v[12:13], v[2:3], v[4:5] op_sel:[0,1] op_sel_hi:[1,0] neg_lo:[0,1] neg_hi:[0,1]
	v_pk_add_f32 v[4:5], v[2:3], v[4:5] op_sel:[0,1] op_sel_hi:[1,0]
	s_nop 0
	v_mov_b32_e32 v13, v5
	v_pk_fma_f32 v[2:3], v[2:3], 2.0, v[12:13] op_sel_hi:[1,0,1] neg_lo:[0,0,1] neg_hi:[0,0,1]
	ds_write2_b64 v29, v[2:3], v[6:7] offset0:2 offset1:3
	ds_write2_b64 v29, v[0:1], v[16:17] offset0:4 offset1:5
	ds_write2_b64 v29, v[12:13], v[10:11] offset0:6 offset1:7
.LBB0_17:
	s_or_b64 exec, exec, s[0:1]
	v_lshlrev_b32_e32 v0, 4, v36
	s_load_dwordx2 s[6:7], s[6:7], 0x0
	s_waitcnt lgkmcnt(0)
	s_barrier
	global_load_dwordx4 v[0:3], v0, s[24:25]
	ds_read_b64 v[14:15], v40
	ds_read2_b64 v[10:13], v39 offset0:32 offset1:64
	v_lshrrev_b32_e32 v4, 3, v27
	v_mul_u32_u24_e32 v4, 24, v4
	v_or_b32_e32 v4, v4, v36
	v_lshlrev_b32_e32 v4, 3, v4
	v_add3_u32 v20, 0, v4, v28
	s_mov_b32 s0, 0x3f5db3d7
	v_cmp_gt_u32_e32 vcc, 24, v27
	s_waitcnt lgkmcnt(0)
	s_barrier
	s_waitcnt vmcnt(0)
	v_pk_mul_f32 v[4:5], v[0:1], v[10:11] op_sel:[0,1]
	v_pk_mul_f32 v[16:17], v[2:3], v[12:13] op_sel:[0,1]
	v_pk_fma_f32 v[18:19], v[0:1], v[10:11], v[4:5] op_sel:[0,0,1] op_sel_hi:[1,1,0] neg_lo:[0,0,1] neg_hi:[0,0,1]
	v_pk_fma_f32 v[0:1], v[0:1], v[10:11], v[4:5] op_sel:[0,0,1] op_sel_hi:[1,0,0]
	v_pk_fma_f32 v[4:5], v[2:3], v[12:13], v[16:17] op_sel:[0,0,1] op_sel_hi:[1,1,0] neg_lo:[0,0,1] neg_hi:[0,0,1]
	v_pk_fma_f32 v[2:3], v[2:3], v[12:13], v[16:17] op_sel:[0,0,1] op_sel_hi:[1,0,0]
	v_mov_b32_e32 v19, v1
	v_mov_b32_e32 v5, v3
	v_pk_add_f32 v[0:1], v[18:19], v[14:15]
	v_pk_add_f32 v[2:3], v[18:19], v[4:5]
	v_pk_add_f32 v[10:11], v[18:19], v[4:5] neg_lo:[0,1] neg_hi:[0,1]
	v_pk_add_f32 v[4:5], v[0:1], v[4:5]
	v_pk_fma_f32 v[0:1], -0.5, v[2:3], v[14:15] op_sel_hi:[0,1,1]
	v_pk_mul_f32 v[10:11], v[10:11], s[0:1] op_sel_hi:[1,0]
	v_cmp_lt_u32_e64 s[0:1], 23, v27
	v_pk_add_f32 v[2:3], v[0:1], v[10:11] op_sel:[0,1] op_sel_hi:[1,0]
	v_pk_add_f32 v[10:11], v[0:1], v[10:11] op_sel:[0,1] op_sel_hi:[1,0] neg_lo:[0,1] neg_hi:[0,1]
	v_mov_b32_e32 v0, v2
	v_mov_b32_e32 v1, v11
	;; [unrolled: 1-line block ×4, first 2 shown]
	ds_write2_b64 v20, v[4:5], v[0:1] offset1:8
	ds_write_b64 v20, v[12:13] offset:128
	s_waitcnt lgkmcnt(0)
	s_barrier
	s_and_saveexec_b64 s[8:9], s[0:1]
	s_xor_b64 s[0:1], exec, s[8:9]
	s_andn2_saveexec_b64 s[0:1], s[0:1]
	s_cbranch_execz .LBB0_19
; %bb.18:
	ds_read2_b64 v[0:3], v39 offset0:24 offset1:48
	ds_read_b64 v[4:5], v40
	ds_read_b64 v[6:7], v39 offset:576
	s_waitcnt lgkmcnt(2)
	v_mov_b32_e32 v10, v2
	v_mov_b32_e32 v11, v1
	;; [unrolled: 1-line block ×3, first 2 shown]
.LBB0_19:
	s_or_b64 exec, exec, s[0:1]
	v_subrev_u32_e32 v0, 24, v27
	v_cndmask_b32_e32 v41, v0, v27, vcc
	v_add_u32_e32 v0, s26, v26
	v_mul_lo_u32 v1, v0, v41
	v_mul_lo_u32 v24, v0, 24
	v_add_u32_e32 v18, v1, v24
	v_add_u32_e32 v25, v18, v24
	v_lshrrev_b32_e32 v13, 3, v1
	v_and_b32_e32 v0, 63, v18
	v_lshrrev_b32_e32 v19, 3, v18
	v_lshrrev_b32_e32 v20, 9, v18
	v_and_b32_e32 v18, 63, v25
	v_add_u32_e32 v24, v25, v24
	v_and_b32_e32 v13, 0x1f8, v13
	s_add_i32 s0, 0, 0x1800
	v_lshl_add_u32 v23, v18, 3, 0
	v_lshrrev_b32_e32 v18, 3, v25
	v_lshrrev_b32_e32 v28, 9, v25
	v_and_b32_e32 v25, 63, v24
	v_add_u32_e32 v14, s0, v13
	v_lshrrev_b32_e32 v13, 9, v1
	v_lshl_add_u32 v29, v25, 3, 0
	v_lshrrev_b32_e32 v25, 3, v24
	v_and_b32_e32 v12, 63, v1
	v_and_b32_e32 v13, 0x1f8, v13
	;; [unrolled: 1-line block ×7, first 2 shown]
	v_lshrrev_b32_e32 v24, 9, v24
	v_lshl_add_u32 v12, v12, 3, 0
	v_add_u32_e32 v16, s0, v13
	v_lshl_add_u32 v17, v0, 3, 0
	v_add_u32_e32 v19, s0, v19
	v_add_u32_e32 v22, s0, v20
	;; [unrolled: 1-line block ×5, first 2 shown]
	v_and_b32_e32 v24, 0x1f8, v24
	ds_read_b64 v[12:13], v12 offset:6144
	ds_read_b64 v[14:15], v14 offset:512
	;; [unrolled: 1-line block ×8, first 2 shown]
	v_add_u32_e32 v42, s0, v24
	ds_read_b64 v[24:25], v28 offset:1024
	ds_read_b64 v[30:31], v29 offset:6144
	;; [unrolled: 1-line block ×4, first 2 shown]
	s_waitcnt lgkmcnt(0)
	s_barrier
	s_and_saveexec_b64 s[0:1], vcc
	s_cbranch_execz .LBB0_21
; %bb.20:
	v_mul_i32_i24_e32 v42, 3, v41
	v_mov_b32_e32 v43, 0
	v_lshl_add_u64 v[46:47], v[42:43], 3, s[24:25]
	global_load_dwordx4 v[42:45], v[46:47], off offset:128
	global_load_dwordx2 v[48:49], v[46:47], off offset:144
	v_mov_b32_e32 v46, v11
	v_mov_b32_e32 v52, v3
	v_mul_f32_e32 v3, v31, v33
	v_mul_f32_e32 v11, v30, v33
	v_mul_f32_e32 v33, v23, v27
	v_mul_f32_e32 v27, v22, v27
	v_mul_f32_e32 v41, v17, v21
	v_mul_f32_e32 v21, v16, v21
	v_mul_f32_e32 v47, v12, v14
	v_pk_mul_f32 v[54:55], v[12:13], v[14:15] op_sel:[1,0] op_sel_hi:[0,1]
	v_fma_f32 v3, v30, v32, -v3
	v_fmac_f32_e32 v11, v31, v32
	v_fma_f32 v14, v22, v26, -v33
	v_fmac_f32_e32 v27, v23, v26
	v_fma_f32 v16, v16, v20, -v41
	v_fmac_f32_e32 v21, v17, v20
	v_fma_f32 v13, -v13, v15, v47
	v_add_f32_e32 v15, v54, v55
	v_mov_b32_e32 v50, v7
	v_mul_f32_e32 v17, v11, v29
	v_mul_f32_e32 v22, v3, v29
	;; [unrolled: 1-line block ×8, first 2 shown]
	v_fma_f32 v29, v28, v3, -v17
	v_fmac_f32_e32 v22, v28, v11
	v_fma_f32 v28, v24, v14, -v20
	v_fmac_f32_e32 v23, v24, v27
	;; [unrolled: 2-line block ×4, first 2 shown]
	s_waitcnt vmcnt(1)
	v_pk_mul_f32 v[0:1], v[46:47], v[42:43] op_sel_hi:[0,1]
	s_waitcnt vmcnt(0)
	v_pk_mul_f32 v[16:17], v[50:51], v[48:49] op_sel_hi:[0,1]
	v_pk_mul_f32 v[18:19], v[52:53], v[44:45] op_sel_hi:[0,1]
	v_pk_fma_f32 v[20:21], v[10:11], v[44:45], v[18:19] op_sel:[0,0,1] op_sel_hi:[1,1,0] neg_lo:[0,0,1] neg_hi:[0,0,1]
	v_pk_fma_f32 v[10:11], v[10:11], v[44:45], v[18:19] op_sel:[0,0,1] op_sel_hi:[0,1,0]
	v_pk_fma_f32 v[18:19], v[2:3], v[42:43], v[0:1] op_sel:[0,0,1] op_sel_hi:[1,1,0] neg_lo:[0,0,1] neg_hi:[0,0,1]
	v_pk_fma_f32 v[0:1], v[2:3], v[42:43], v[0:1] op_sel:[0,0,1] op_sel_hi:[0,1,0]
	;; [unrolled: 2-line block ×3, first 2 shown]
	v_mov_b32_e32 v21, v11
	v_mov_b32_e32 v19, v1
	v_mov_b32_e32 v3, v7
	v_pk_add_f32 v[0:1], v[4:5], v[20:21] neg_lo:[0,1] neg_hi:[0,1]
	v_pk_add_f32 v[2:3], v[18:19], v[2:3] neg_lo:[0,1] neg_hi:[0,1]
	v_pk_fma_f32 v[4:5], v[4:5], 2.0, v[0:1] op_sel_hi:[1,0,1] neg_lo:[0,0,1] neg_hi:[0,0,1]
	v_add_f32_e32 v6, v1, v2
	v_sub_f32_e32 v10, v0, v3
	v_pk_fma_f32 v[2:3], v[18:19], 2.0, v[2:3] op_sel_hi:[1,0,1] neg_lo:[0,0,1] neg_hi:[0,0,1]
	v_mul_f32_e32 v7, v10, v22
	v_pk_add_f32 v[2:3], v[4:5], v[2:3] neg_lo:[0,1] neg_hi:[0,1]
	v_mul_f32_e32 v11, v6, v22
	v_fma_f32 v13, v1, 2.0, -v6
	v_fma_f32 v15, v0, 2.0, -v10
	v_mul_f32_e32 v1, v2, v23
	v_mul_f32_e32 v0, v3, v23
	v_pk_fma_f32 v[4:5], v[4:5], 2.0, v[2:3] op_sel_hi:[1,0,1] neg_lo:[0,0,1] neg_hi:[0,0,1]
	v_fmac_f32_e32 v7, v6, v29
	v_fma_f32 v6, v10, v29, -v11
	v_mul_f32_e32 v11, v15, v26
	v_fmac_f32_e32 v1, v3, v28
	v_fma_f32 v0, v2, v28, -v0
	v_pk_mul_f32 v[2:3], v[4:5], v[12:13] op_sel_hi:[1,0]
	v_mul_f32_e32 v10, v13, v26
	v_fmac_f32_e32 v11, v13, v24
	v_pk_fma_f32 v[12:13], v[4:5], v[14:15], v[2:3] op_sel:[0,0,1] op_sel_hi:[1,1,0] neg_lo:[0,0,1] neg_hi:[0,0,1]
	v_pk_fma_f32 v[2:3], v[4:5], v[14:15], v[2:3] op_sel:[0,0,1] op_sel_hi:[1,0,0]
	v_fma_f32 v10, v15, v24, -v10
	v_mov_b32_e32 v13, v3
	ds_write2_b64 v39, v[10:11], v[0:1] offset0:24 offset1:48
	ds_write_b64 v40, v[12:13]
	ds_write_b64 v39, v[6:7] offset:576
.LBB0_21:
	s_or_b64 exec, exec, s[0:1]
	s_waitcnt lgkmcnt(0)
	s_barrier
	s_and_saveexec_b64 s[0:1], s[2:3]
	s_cbranch_execz .LBB0_23
; %bb.22:
	v_mad_u64_u32 v[4:5], s[2:3], s14, v36, 0
	v_mov_b32_e32 v0, v5
	v_mad_u64_u32 v[0:1], s[2:3], s15, v36, v[0:1]
	v_mad_u64_u32 v[6:7], s[2:3], s12, v37, 0
	v_mov_b32_e32 v5, v0
	v_mov_b32_e32 v0, v7
	s_mul_i32 s0, s7, s4
	s_mul_hi_u32 s1, s6, s4
	v_mad_u64_u32 v[0:1], s[2:3], s13, v37, v[0:1]
	s_add_i32 s1, s1, s0
	s_mul_i32 s0, s6, s4
	v_mov_b32_e32 v7, v0
	v_mul_u32_u24_e32 v0, 0x300, v36
	v_add3_u32 v10, 0, v0, v38
	s_lshl_b64 s[0:1], s[0:1], 3
	s_add_u32 s0, s18, s0
	ds_read2_b64 v[0:3], v10 offset1:32
	s_addc_u32 s1, s19, s1
	v_lshlrev_b64 v[8:9], 3, v[8:9]
	v_lshl_add_u64 v[8:9], s[0:1], 0, v[8:9]
	v_lshl_add_u64 v[4:5], v[4:5], 3, v[8:9]
	;; [unrolled: 1-line block ×3, first 2 shown]
	s_waitcnt lgkmcnt(0)
	global_store_dwordx2 v[6:7], v[0:1], off
	v_mad_u64_u32 v[0:1], s[0:1], s12, v35, 0
	v_mov_b32_e32 v6, v1
	v_mad_u64_u32 v[6:7], s[0:1], s13, v35, v[6:7]
	v_mov_b32_e32 v1, v6
	v_lshl_add_u64 v[0:1], v[0:1], 3, v[4:5]
	global_store_dwordx2 v[0:1], v[2:3], off
	v_mad_u64_u32 v[0:1], s[0:1], s12, v34, 0
	ds_read_b64 v[6:7], v10 offset:512
	v_mov_b32_e32 v2, v1
	v_mad_u64_u32 v[2:3], s[0:1], s13, v34, v[2:3]
	v_mov_b32_e32 v1, v2
	v_lshl_add_u64 v[0:1], v[0:1], 3, v[4:5]
	s_waitcnt lgkmcnt(0)
	global_store_dwordx2 v[0:1], v[6:7], off
.LBB0_23:
	s_endpgm
	.section	.rodata,"a",@progbits
	.p2align	6, 0x0
	.amdhsa_kernel fft_rtc_fwd_len96_factors_8_3_4_wgs_256_tpt_32_sp_op_CI_CI_sbcc_twdbase6_3step
		.amdhsa_group_segment_fixed_size 0
		.amdhsa_private_segment_fixed_size 0
		.amdhsa_kernarg_size 112
		.amdhsa_user_sgpr_count 2
		.amdhsa_user_sgpr_dispatch_ptr 0
		.amdhsa_user_sgpr_queue_ptr 0
		.amdhsa_user_sgpr_kernarg_segment_ptr 1
		.amdhsa_user_sgpr_dispatch_id 0
		.amdhsa_user_sgpr_kernarg_preload_length 0
		.amdhsa_user_sgpr_kernarg_preload_offset 0
		.amdhsa_user_sgpr_private_segment_size 0
		.amdhsa_uses_dynamic_stack 0
		.amdhsa_enable_private_segment 0
		.amdhsa_system_sgpr_workgroup_id_x 1
		.amdhsa_system_sgpr_workgroup_id_y 0
		.amdhsa_system_sgpr_workgroup_id_z 0
		.amdhsa_system_sgpr_workgroup_info 0
		.amdhsa_system_vgpr_workitem_id 0
		.amdhsa_next_free_vgpr 56
		.amdhsa_next_free_sgpr 51
		.amdhsa_accum_offset 56
		.amdhsa_reserve_vcc 1
		.amdhsa_float_round_mode_32 0
		.amdhsa_float_round_mode_16_64 0
		.amdhsa_float_denorm_mode_32 3
		.amdhsa_float_denorm_mode_16_64 3
		.amdhsa_dx10_clamp 1
		.amdhsa_ieee_mode 1
		.amdhsa_fp16_overflow 0
		.amdhsa_tg_split 0
		.amdhsa_exception_fp_ieee_invalid_op 0
		.amdhsa_exception_fp_denorm_src 0
		.amdhsa_exception_fp_ieee_div_zero 0
		.amdhsa_exception_fp_ieee_overflow 0
		.amdhsa_exception_fp_ieee_underflow 0
		.amdhsa_exception_fp_ieee_inexact 0
		.amdhsa_exception_int_div_zero 0
	.end_amdhsa_kernel
	.text
.Lfunc_end0:
	.size	fft_rtc_fwd_len96_factors_8_3_4_wgs_256_tpt_32_sp_op_CI_CI_sbcc_twdbase6_3step, .Lfunc_end0-fft_rtc_fwd_len96_factors_8_3_4_wgs_256_tpt_32_sp_op_CI_CI_sbcc_twdbase6_3step
                                        ; -- End function
	.section	.AMDGPU.csdata,"",@progbits
; Kernel info:
; codeLenInByte = 3540
; NumSgprs: 57
; NumVgprs: 56
; NumAgprs: 0
; TotalNumVgprs: 56
; ScratchSize: 0
; MemoryBound: 0
; FloatMode: 240
; IeeeMode: 1
; LDSByteSize: 0 bytes/workgroup (compile time only)
; SGPRBlocks: 7
; VGPRBlocks: 6
; NumSGPRsForWavesPerEU: 57
; NumVGPRsForWavesPerEU: 56
; AccumOffset: 56
; Occupancy: 8
; WaveLimiterHint : 1
; COMPUTE_PGM_RSRC2:SCRATCH_EN: 0
; COMPUTE_PGM_RSRC2:USER_SGPR: 2
; COMPUTE_PGM_RSRC2:TRAP_HANDLER: 0
; COMPUTE_PGM_RSRC2:TGID_X_EN: 1
; COMPUTE_PGM_RSRC2:TGID_Y_EN: 0
; COMPUTE_PGM_RSRC2:TGID_Z_EN: 0
; COMPUTE_PGM_RSRC2:TIDIG_COMP_CNT: 0
; COMPUTE_PGM_RSRC3_GFX90A:ACCUM_OFFSET: 13
; COMPUTE_PGM_RSRC3_GFX90A:TG_SPLIT: 0
	.text
	.p2alignl 6, 3212836864
	.fill 256, 4, 3212836864
	.type	__hip_cuid_c356db61ab7591e5,@object ; @__hip_cuid_c356db61ab7591e5
	.section	.bss,"aw",@nobits
	.globl	__hip_cuid_c356db61ab7591e5
__hip_cuid_c356db61ab7591e5:
	.byte	0                               ; 0x0
	.size	__hip_cuid_c356db61ab7591e5, 1

	.ident	"AMD clang version 19.0.0git (https://github.com/RadeonOpenCompute/llvm-project roc-6.4.0 25133 c7fe45cf4b819c5991fe208aaa96edf142730f1d)"
	.section	".note.GNU-stack","",@progbits
	.addrsig
	.addrsig_sym __hip_cuid_c356db61ab7591e5
	.amdgpu_metadata
---
amdhsa.kernels:
  - .agpr_count:     0
    .args:
      - .actual_access:  read_only
        .address_space:  global
        .offset:         0
        .size:           8
        .value_kind:     global_buffer
      - .address_space:  global
        .offset:         8
        .size:           8
        .value_kind:     global_buffer
      - .offset:         16
        .size:           8
        .value_kind:     by_value
      - .actual_access:  read_only
        .address_space:  global
        .offset:         24
        .size:           8
        .value_kind:     global_buffer
      - .actual_access:  read_only
        .address_space:  global
        .offset:         32
        .size:           8
        .value_kind:     global_buffer
      - .actual_access:  read_only
        .address_space:  global
        .offset:         40
        .size:           8
        .value_kind:     global_buffer
      - .offset:         48
        .size:           8
        .value_kind:     by_value
      - .actual_access:  read_only
        .address_space:  global
        .offset:         56
        .size:           8
        .value_kind:     global_buffer
      - .actual_access:  read_only
        .address_space:  global
        .offset:         64
        .size:           8
        .value_kind:     global_buffer
      - .offset:         72
        .size:           4
        .value_kind:     by_value
      - .actual_access:  read_only
        .address_space:  global
        .offset:         80
        .size:           8
        .value_kind:     global_buffer
      - .actual_access:  read_only
        .address_space:  global
        .offset:         88
        .size:           8
        .value_kind:     global_buffer
      - .actual_access:  read_only
        .address_space:  global
        .offset:         96
        .size:           8
        .value_kind:     global_buffer
      - .actual_access:  write_only
        .address_space:  global
        .offset:         104
        .size:           8
        .value_kind:     global_buffer
    .group_segment_fixed_size: 0
    .kernarg_segment_align: 8
    .kernarg_segment_size: 112
    .language:       OpenCL C
    .language_version:
      - 2
      - 0
    .max_flat_workgroup_size: 256
    .name:           fft_rtc_fwd_len96_factors_8_3_4_wgs_256_tpt_32_sp_op_CI_CI_sbcc_twdbase6_3step
    .private_segment_fixed_size: 0
    .sgpr_count:     57
    .sgpr_spill_count: 0
    .symbol:         fft_rtc_fwd_len96_factors_8_3_4_wgs_256_tpt_32_sp_op_CI_CI_sbcc_twdbase6_3step.kd
    .uniform_work_group_size: 1
    .uses_dynamic_stack: false
    .vgpr_count:     56
    .vgpr_spill_count: 0
    .wavefront_size: 64
amdhsa.target:   amdgcn-amd-amdhsa--gfx950
amdhsa.version:
  - 1
  - 2
...

	.end_amdgpu_metadata
